;; amdgpu-corpus repo=ROCm/rocFFT kind=compiled arch=gfx906 opt=O3
	.text
	.amdgcn_target "amdgcn-amd-amdhsa--gfx906"
	.amdhsa_code_object_version 6
	.protected	fft_rtc_fwd_len616_factors_11_7_8_wgs_88_tpt_88_dp_op_CI_CI_unitstride_sbrr_dirReg ; -- Begin function fft_rtc_fwd_len616_factors_11_7_8_wgs_88_tpt_88_dp_op_CI_CI_unitstride_sbrr_dirReg
	.globl	fft_rtc_fwd_len616_factors_11_7_8_wgs_88_tpt_88_dp_op_CI_CI_unitstride_sbrr_dirReg
	.p2align	8
	.type	fft_rtc_fwd_len616_factors_11_7_8_wgs_88_tpt_88_dp_op_CI_CI_unitstride_sbrr_dirReg,@function
fft_rtc_fwd_len616_factors_11_7_8_wgs_88_tpt_88_dp_op_CI_CI_unitstride_sbrr_dirReg: ; @fft_rtc_fwd_len616_factors_11_7_8_wgs_88_tpt_88_dp_op_CI_CI_unitstride_sbrr_dirReg
; %bb.0:
	s_load_dwordx4 s[8:11], s[4:5], 0x58
	s_load_dwordx4 s[12:15], s[4:5], 0x0
	;; [unrolled: 1-line block ×3, first 2 shown]
	v_mul_u32_u24_e32 v1, 0x2e9, v0
	v_add_u32_sdwa v5, s6, v1 dst_sel:DWORD dst_unused:UNUSED_PAD src0_sel:DWORD src1_sel:WORD_1
	v_mov_b32_e32 v3, 0
	s_waitcnt lgkmcnt(0)
	v_cmp_lt_u64_e64 s[0:1], s[14:15], 2
	v_mov_b32_e32 v1, 0
	v_mov_b32_e32 v6, v3
	s_and_b64 vcc, exec, s[0:1]
	v_mov_b32_e32 v2, 0
	s_cbranch_vccnz .LBB0_8
; %bb.1:
	s_load_dwordx2 s[0:1], s[4:5], 0x10
	s_add_u32 s2, s18, 8
	s_addc_u32 s3, s19, 0
	s_add_u32 s6, s16, 8
	v_mov_b32_e32 v1, 0
	s_addc_u32 s7, s17, 0
	v_mov_b32_e32 v2, 0
	s_waitcnt lgkmcnt(0)
	s_add_u32 s20, s0, 8
	v_mov_b32_e32 v61, v2
	s_addc_u32 s21, s1, 0
	s_mov_b64 s[22:23], 1
	v_mov_b32_e32 v60, v1
.LBB0_2:                                ; =>This Inner Loop Header: Depth=1
	s_load_dwordx2 s[24:25], s[20:21], 0x0
                                        ; implicit-def: $vgpr64_vgpr65
	s_waitcnt lgkmcnt(0)
	v_or_b32_e32 v4, s25, v6
	v_cmp_ne_u64_e32 vcc, 0, v[3:4]
	s_and_saveexec_b64 s[0:1], vcc
	s_xor_b64 s[26:27], exec, s[0:1]
	s_cbranch_execz .LBB0_4
; %bb.3:                                ;   in Loop: Header=BB0_2 Depth=1
	v_cvt_f32_u32_e32 v4, s24
	v_cvt_f32_u32_e32 v7, s25
	s_sub_u32 s0, 0, s24
	s_subb_u32 s1, 0, s25
	v_mac_f32_e32 v4, 0x4f800000, v7
	v_rcp_f32_e32 v4, v4
	v_mul_f32_e32 v4, 0x5f7ffffc, v4
	v_mul_f32_e32 v7, 0x2f800000, v4
	v_trunc_f32_e32 v7, v7
	v_mac_f32_e32 v4, 0xcf800000, v7
	v_cvt_u32_f32_e32 v7, v7
	v_cvt_u32_f32_e32 v4, v4
	v_mul_lo_u32 v8, s0, v7
	v_mul_hi_u32 v9, s0, v4
	v_mul_lo_u32 v11, s1, v4
	v_mul_lo_u32 v10, s0, v4
	v_add_u32_e32 v8, v9, v8
	v_add_u32_e32 v8, v8, v11
	v_mul_hi_u32 v9, v4, v10
	v_mul_lo_u32 v11, v4, v8
	v_mul_hi_u32 v13, v4, v8
	v_mul_hi_u32 v12, v7, v10
	v_mul_lo_u32 v10, v7, v10
	v_mul_hi_u32 v14, v7, v8
	v_add_co_u32_e32 v9, vcc, v9, v11
	v_addc_co_u32_e32 v11, vcc, 0, v13, vcc
	v_mul_lo_u32 v8, v7, v8
	v_add_co_u32_e32 v9, vcc, v9, v10
	v_addc_co_u32_e32 v9, vcc, v11, v12, vcc
	v_addc_co_u32_e32 v10, vcc, 0, v14, vcc
	v_add_co_u32_e32 v8, vcc, v9, v8
	v_addc_co_u32_e32 v9, vcc, 0, v10, vcc
	v_add_co_u32_e32 v4, vcc, v4, v8
	v_addc_co_u32_e32 v7, vcc, v7, v9, vcc
	v_mul_lo_u32 v8, s0, v7
	v_mul_hi_u32 v9, s0, v4
	v_mul_lo_u32 v10, s1, v4
	v_mul_lo_u32 v11, s0, v4
	v_add_u32_e32 v8, v9, v8
	v_add_u32_e32 v8, v8, v10
	v_mul_lo_u32 v12, v4, v8
	v_mul_hi_u32 v13, v4, v11
	v_mul_hi_u32 v14, v4, v8
	v_mul_hi_u32 v10, v7, v11
	v_mul_lo_u32 v11, v7, v11
	v_mul_hi_u32 v9, v7, v8
	v_add_co_u32_e32 v12, vcc, v13, v12
	v_addc_co_u32_e32 v13, vcc, 0, v14, vcc
	v_mul_lo_u32 v8, v7, v8
	v_add_co_u32_e32 v11, vcc, v12, v11
	v_addc_co_u32_e32 v10, vcc, v13, v10, vcc
	v_addc_co_u32_e32 v9, vcc, 0, v9, vcc
	v_add_co_u32_e32 v8, vcc, v10, v8
	v_addc_co_u32_e32 v9, vcc, 0, v9, vcc
	v_add_co_u32_e32 v4, vcc, v4, v8
	v_addc_co_u32_e32 v9, vcc, v7, v9, vcc
	v_mad_u64_u32 v[7:8], s[0:1], v5, v9, 0
	v_mul_hi_u32 v10, v5, v4
	v_add_co_u32_e32 v11, vcc, v10, v7
	v_addc_co_u32_e32 v12, vcc, 0, v8, vcc
	v_mad_u64_u32 v[7:8], s[0:1], v6, v4, 0
	v_mad_u64_u32 v[9:10], s[0:1], v6, v9, 0
	v_add_co_u32_e32 v4, vcc, v11, v7
	v_addc_co_u32_e32 v4, vcc, v12, v8, vcc
	v_addc_co_u32_e32 v7, vcc, 0, v10, vcc
	v_add_co_u32_e32 v4, vcc, v4, v9
	v_addc_co_u32_e32 v9, vcc, 0, v7, vcc
	v_mul_lo_u32 v10, s25, v4
	v_mul_lo_u32 v11, s24, v9
	v_mad_u64_u32 v[7:8], s[0:1], s24, v4, 0
	v_add3_u32 v8, v8, v11, v10
	v_sub_u32_e32 v10, v6, v8
	v_mov_b32_e32 v11, s25
	v_sub_co_u32_e32 v7, vcc, v5, v7
	v_subb_co_u32_e64 v10, s[0:1], v10, v11, vcc
	v_subrev_co_u32_e64 v11, s[0:1], s24, v7
	v_subbrev_co_u32_e64 v10, s[0:1], 0, v10, s[0:1]
	v_cmp_le_u32_e64 s[0:1], s25, v10
	v_cndmask_b32_e64 v12, 0, -1, s[0:1]
	v_cmp_le_u32_e64 s[0:1], s24, v11
	v_cndmask_b32_e64 v11, 0, -1, s[0:1]
	v_cmp_eq_u32_e64 s[0:1], s25, v10
	v_cndmask_b32_e64 v10, v12, v11, s[0:1]
	v_add_co_u32_e64 v11, s[0:1], 2, v4
	v_addc_co_u32_e64 v12, s[0:1], 0, v9, s[0:1]
	v_add_co_u32_e64 v13, s[0:1], 1, v4
	v_addc_co_u32_e64 v14, s[0:1], 0, v9, s[0:1]
	v_subb_co_u32_e32 v8, vcc, v6, v8, vcc
	v_cmp_ne_u32_e64 s[0:1], 0, v10
	v_cmp_le_u32_e32 vcc, s25, v8
	v_cndmask_b32_e64 v10, v14, v12, s[0:1]
	v_cndmask_b32_e64 v12, 0, -1, vcc
	v_cmp_le_u32_e32 vcc, s24, v7
	v_cndmask_b32_e64 v7, 0, -1, vcc
	v_cmp_eq_u32_e32 vcc, s25, v8
	v_cndmask_b32_e32 v7, v12, v7, vcc
	v_cmp_ne_u32_e32 vcc, 0, v7
	v_cndmask_b32_e64 v7, v13, v11, s[0:1]
	v_cndmask_b32_e32 v65, v9, v10, vcc
	v_cndmask_b32_e32 v64, v4, v7, vcc
.LBB0_4:                                ;   in Loop: Header=BB0_2 Depth=1
	s_andn2_saveexec_b64 s[0:1], s[26:27]
	s_cbranch_execz .LBB0_6
; %bb.5:                                ;   in Loop: Header=BB0_2 Depth=1
	v_cvt_f32_u32_e32 v4, s24
	s_sub_i32 s26, 0, s24
	v_mov_b32_e32 v65, v3
	v_rcp_iflag_f32_e32 v4, v4
	v_mul_f32_e32 v4, 0x4f7ffffe, v4
	v_cvt_u32_f32_e32 v4, v4
	v_mul_lo_u32 v7, s26, v4
	v_mul_hi_u32 v7, v4, v7
	v_add_u32_e32 v4, v4, v7
	v_mul_hi_u32 v4, v5, v4
	v_mul_lo_u32 v7, v4, s24
	v_add_u32_e32 v8, 1, v4
	v_sub_u32_e32 v7, v5, v7
	v_subrev_u32_e32 v9, s24, v7
	v_cmp_le_u32_e32 vcc, s24, v7
	v_cndmask_b32_e32 v7, v7, v9, vcc
	v_cndmask_b32_e32 v4, v4, v8, vcc
	v_add_u32_e32 v8, 1, v4
	v_cmp_le_u32_e32 vcc, s24, v7
	v_cndmask_b32_e32 v64, v4, v8, vcc
.LBB0_6:                                ;   in Loop: Header=BB0_2 Depth=1
	s_or_b64 exec, exec, s[0:1]
	v_mul_lo_u32 v4, v65, s24
	v_mul_lo_u32 v9, v64, s25
	v_mad_u64_u32 v[7:8], s[0:1], v64, s24, 0
	s_load_dwordx2 s[0:1], s[6:7], 0x0
	s_load_dwordx2 s[24:25], s[2:3], 0x0
	v_add3_u32 v4, v8, v9, v4
	v_sub_co_u32_e32 v5, vcc, v5, v7
	v_subb_co_u32_e32 v4, vcc, v6, v4, vcc
	s_waitcnt lgkmcnt(0)
	v_mul_lo_u32 v6, s0, v4
	v_mul_lo_u32 v7, s1, v5
	v_mad_u64_u32 v[1:2], s[0:1], s0, v5, v[1:2]
	v_mul_lo_u32 v4, s24, v4
	v_mul_lo_u32 v8, s25, v5
	v_mad_u64_u32 v[60:61], s[0:1], s24, v5, v[60:61]
	s_add_u32 s22, s22, 1
	s_addc_u32 s23, s23, 0
	s_add_u32 s2, s2, 8
	v_add3_u32 v61, v8, v61, v4
	s_addc_u32 s3, s3, 0
	v_mov_b32_e32 v4, s14
	s_add_u32 s6, s6, 8
	v_mov_b32_e32 v5, s15
	s_addc_u32 s7, s7, 0
	v_cmp_ge_u64_e32 vcc, s[22:23], v[4:5]
	s_add_u32 s20, s20, 8
	v_add3_u32 v2, v7, v2, v6
	s_addc_u32 s21, s21, 0
	s_cbranch_vccnz .LBB0_9
; %bb.7:                                ;   in Loop: Header=BB0_2 Depth=1
	v_mov_b32_e32 v5, v64
	v_mov_b32_e32 v6, v65
	s_branch .LBB0_2
.LBB0_8:
	v_mov_b32_e32 v61, v2
	v_mov_b32_e32 v65, v6
	;; [unrolled: 1-line block ×4, first 2 shown]
.LBB0_9:
	s_mov_b32 s2, 0x2e8ba2f
	s_load_dwordx2 s[0:1], s[4:5], 0x28
	v_mul_hi_u32 v3, v0, s2
	s_lshl_b64 s[14:15], s[14:15], 3
	s_add_u32 s4, s18, s14
	s_addc_u32 s5, s19, s15
	v_mul_u32_u24_e32 v3, 0x58, v3
	s_waitcnt lgkmcnt(0)
	v_cmp_gt_u64_e64 s[0:1], s[0:1], v[64:65]
	v_sub_u32_e32 v62, v0, v3
	v_cmp_gt_u32_e64 s[2:3], 56, v62
	s_and_b64 s[18:19], s[0:1], s[2:3]
                                        ; implicit-def: $vgpr42_vgpr43
                                        ; implicit-def: $vgpr34_vgpr35
                                        ; implicit-def: $vgpr38_vgpr39
                                        ; implicit-def: $vgpr22_vgpr23
                                        ; implicit-def: $vgpr10_vgpr11
                                        ; implicit-def: $vgpr14_vgpr15
                                        ; implicit-def: $vgpr18_vgpr19
                                        ; implicit-def: $vgpr26_vgpr27
                                        ; implicit-def: $vgpr30_vgpr31
                                        ; implicit-def: $vgpr46_vgpr47
                                        ; implicit-def: $vgpr6_vgpr7
	s_and_saveexec_b64 s[6:7], s[18:19]
	s_cbranch_execz .LBB0_11
; %bb.10:
	s_add_u32 s14, s16, s14
	s_addc_u32 s15, s17, s15
	s_load_dwordx2 s[14:15], s[14:15], 0x0
	v_mov_b32_e32 v6, s9
	v_mov_b32_e32 v63, 0
	s_waitcnt lgkmcnt(0)
	v_mul_lo_u32 v0, s15, v64
	v_mul_lo_u32 v5, s14, v65
	v_mad_u64_u32 v[3:4], s[14:15], s14, v64, 0
	v_add3_u32 v4, v4, v5, v0
	v_lshlrev_b64 v[3:4], 4, v[3:4]
	v_lshlrev_b64 v[0:1], 4, v[1:2]
	v_add_co_u32_e32 v3, vcc, s8, v3
	v_addc_co_u32_e32 v4, vcc, v6, v4, vcc
	v_add_co_u32_e32 v8, vcc, v3, v0
	v_addc_co_u32_e32 v9, vcc, v4, v1, vcc
	v_lshlrev_b64 v[0:1], 4, v[62:63]
	v_or_b32_e32 v2, 0x1c0, v62
	v_mov_b32_e32 v3, v63
	v_add_co_u32_e32 v0, vcc, v8, v0
	v_lshlrev_b64 v[2:3], 4, v[2:3]
	v_addc_co_u32_e32 v1, vcc, v9, v1, vcc
	v_add_co_u32_e32 v2, vcc, v8, v2
	s_movk_i32 s8, 0x1000
	v_addc_co_u32_e32 v3, vcc, v9, v3, vcc
	v_add_co_u32_e32 v48, vcc, s8, v0
	v_addc_co_u32_e32 v49, vcc, 0, v1, vcc
	v_add_co_u32_e32 v50, vcc, 0x2000, v0
	global_load_dwordx4 v[4:7], v[0:1], off
	global_load_dwordx4 v[40:43], v[0:1], off offset:896
	global_load_dwordx4 v[44:47], v[0:1], off offset:1792
	;; [unrolled: 1-line block ×3, first 2 shown]
	v_addc_co_u32_e32 v51, vcc, 0, v1, vcc
	global_load_dwordx4 v[36:39], v[0:1], off offset:3584
	global_load_dwordx4 v[28:31], v[48:49], off offset:384
	;; [unrolled: 1-line block ×4, first 2 shown]
	global_load_dwordx4 v[16:19], v[2:3], off
	global_load_dwordx4 v[12:15], v[48:49], off offset:3968
	global_load_dwordx4 v[8:11], v[50:51], off offset:768
.LBB0_11:
	s_or_b64 exec, exec, s[6:7]
	s_waitcnt vmcnt(0)
	v_add_f64 v[96:97], v[40:41], -v[8:9]
	s_mov_b32 s16, 0xbb3a28a1
	s_mov_b32 s17, 0xbfe82f19
	v_add_f64 v[66:67], v[40:41], v[8:9]
	v_add_f64 v[72:73], v[42:43], v[10:11]
	v_add_f64 v[98:99], v[44:45], -v[12:13]
	s_mov_b32 s6, 0x7f775887
	s_mov_b32 s30, 0x43842ef
	v_mul_f64 v[48:49], v[96:97], s[16:17]
	s_mov_b32 s7, 0xbfe4f49e
	s_mov_b32 s31, 0x3fefac9e
	v_add_f64 v[78:79], v[42:43], -v[10:11]
	v_add_f64 v[68:69], v[12:13], v[44:45]
	v_mul_f64 v[54:55], v[66:67], s[6:7]
	v_add_f64 v[74:75], v[14:15], v[46:47]
	v_mul_f64 v[56:57], v[98:99], s[30:31]
	v_fma_f64 v[2:3], v[72:73], s[6:7], -v[48:49]
	v_add_f64 v[100:101], v[32:33], -v[16:17]
	s_mov_b32 s8, 0x640f44db
	s_mov_b32 s26, 0xf8bb580b
	;; [unrolled: 1-line block ×4, first 2 shown]
	v_add_f64 v[70:71], v[46:47], -v[14:15]
	v_mul_f64 v[52:53], v[68:69], s[8:9]
	v_fma_f64 v[0:1], v[78:79], s[16:17], v[54:55]
	v_add_f64 v[2:3], v[2:3], v[6:7]
	v_add_f64 v[76:77], v[32:33], v[16:17]
	v_fma_f64 v[58:59], v[74:75], s[8:9], -v[56:57]
	v_add_f64 v[80:81], v[34:35], v[18:19]
	v_mul_f64 v[108:109], v[100:101], s[26:27]
	s_mov_b32 s18, 0x8764f0ba
	s_mov_b32 s19, 0x3feaeb8c
	v_fma_f64 v[50:51], v[70:71], s[30:31], v[52:53]
	v_add_f64 v[0:1], v[0:1], v[4:5]
	v_add_f64 v[84:85], v[34:35], -v[18:19]
	v_mul_f64 v[106:107], v[76:77], s[18:19]
	v_add_f64 v[2:3], v[2:3], v[58:59]
	v_add_f64 v[82:83], v[36:37], v[24:25]
	v_fma_f64 v[88:89], v[80:81], s[18:19], -v[108:109]
	v_add_f64 v[102:103], v[36:37], -v[24:25]
	s_mov_b32 s20, 0x9bcd5057
	s_mov_b32 s22, 0xfd768dbf
	;; [unrolled: 1-line block ×4, first 2 shown]
	v_add_f64 v[0:1], v[50:51], v[0:1]
	v_fma_f64 v[50:51], v[84:85], s[26:27], v[106:107]
	v_add_f64 v[92:93], v[38:39], -v[26:27]
	v_mul_f64 v[58:59], v[82:83], s[20:21]
	v_add_f64 v[86:87], v[38:39], v[26:27]
	v_mul_f64 v[114:115], v[102:103], s[22:23]
	v_add_f64 v[2:3], v[88:89], v[2:3]
	v_add_f64 v[88:89], v[20:21], v[28:29]
	v_add_f64 v[104:105], v[28:29], -v[20:21]
	s_mov_b32 s24, 0xd9c712b6
	s_mov_b32 s25, 0x3fda9628
	;; [unrolled: 1-line block ×4, first 2 shown]
	v_add_f64 v[0:1], v[50:51], v[0:1]
	v_fma_f64 v[50:51], v[92:93], s[22:23], v[58:59]
	v_fma_f64 v[116:117], v[86:87], s[20:21], -v[114:115]
	v_add_f64 v[94:95], v[30:31], -v[22:23]
	v_mul_f64 v[110:111], v[88:89], s[24:25]
	v_add_f64 v[90:91], v[22:23], v[30:31]
	v_mul_f64 v[112:113], v[104:105], s[28:29]
	v_add_f64 v[0:1], v[50:51], v[0:1]
	v_add_f64 v[2:3], v[116:117], v[2:3]
	v_fma_f64 v[50:51], v[94:95], s[28:29], v[110:111]
	v_fma_f64 v[116:117], v[90:91], s[24:25], -v[112:113]
	v_add_f64 v[0:1], v[50:51], v[0:1]
	v_add_f64 v[2:3], v[116:117], v[2:3]
	s_and_saveexec_b64 s[14:15], s[2:3]
	s_cbranch_execz .LBB0_13
; %bb.12:
	v_mul_f64 v[50:51], v[96:97], s[22:23]
	v_mul_f64 v[116:117], v[78:79], s[22:23]
	s_mov_b32 s35, 0x3fe14ced
	s_mov_b32 s34, s26
	v_mul_f64 v[120:121], v[98:99], s[34:35]
	v_mul_f64 v[122:123], v[70:71], s[34:35]
	;; [unrolled: 1-line block ×4, first 2 shown]
	v_fma_f64 v[124:125], v[72:73], s[20:21], -v[50:51]
	v_fma_f64 v[126:127], v[66:67], s[20:21], v[116:117]
	v_mul_f64 v[130:131], v[102:103], s[28:29]
	v_mul_f64 v[132:133], v[92:93], s[28:29]
	v_fma_f64 v[134:135], v[74:75], s[18:19], -v[120:121]
	v_fma_f64 v[136:137], v[68:69], s[18:19], v[122:123]
	v_fma_f64 v[142:143], v[80:81], s[6:7], -v[118:119]
	v_fma_f64 v[144:145], v[76:77], s[6:7], v[128:129]
	v_add_f64 v[124:125], v[124:125], v[6:7]
	v_add_f64 v[126:127], v[126:127], v[4:5]
	v_fma_f64 v[50:51], v[72:73], s[20:21], v[50:51]
	v_fma_f64 v[116:117], v[66:67], s[20:21], -v[116:117]
	s_mov_b32 s3, 0xbfefac9e
	s_mov_b32 s2, s30
	v_mul_f64 v[138:139], v[72:73], s[6:7]
	v_mul_f64 v[140:141], v[104:105], s[2:3]
	v_add_f64 v[124:125], v[124:125], v[134:135]
	v_add_f64 v[126:127], v[136:137], v[126:127]
	v_mul_f64 v[134:135], v[94:95], s[2:3]
	v_fma_f64 v[136:137], v[86:87], s[24:25], -v[130:131]
	v_fma_f64 v[146:147], v[82:83], s[24:25], v[132:133]
	v_fma_f64 v[120:121], v[74:75], s[18:19], v[120:121]
	v_add_f64 v[50:51], v[50:51], v[6:7]
	v_fma_f64 v[122:123], v[68:69], s[18:19], -v[122:123]
	v_add_f64 v[124:125], v[142:143], v[124:125]
	v_add_f64 v[126:127], v[144:145], v[126:127]
	;; [unrolled: 1-line block ×3, first 2 shown]
	v_fma_f64 v[118:119], v[80:81], s[6:7], v[118:119]
	v_fma_f64 v[142:143], v[90:91], s[8:9], -v[140:141]
	v_fma_f64 v[144:145], v[88:89], s[8:9], v[134:135]
	v_add_f64 v[50:51], v[50:51], v[120:121]
	s_mov_b32 s37, 0x3fd207e7
	v_add_f64 v[120:121], v[136:137], v[124:125]
	v_add_f64 v[124:125], v[146:147], v[126:127]
	v_fma_f64 v[126:127], v[76:77], s[6:7], -v[128:129]
	v_add_f64 v[116:117], v[122:123], v[116:117]
	v_mul_f64 v[122:123], v[74:75], s[8:9]
	v_mul_f64 v[128:129], v[78:79], s[16:17]
	v_add_f64 v[136:137], v[138:139], v[48:49]
	v_add_f64 v[118:119], v[118:119], v[50:51]
	;; [unrolled: 1-line block ×4, first 2 shown]
	v_fma_f64 v[120:121], v[86:87], s[24:25], v[130:131]
	v_mul_f64 v[124:125], v[70:71], s[30:31]
	v_add_f64 v[56:57], v[122:123], v[56:57]
	v_add_f64 v[54:55], v[54:55], -v[128:129]
	v_mul_f64 v[128:129], v[80:81], s[18:19]
	v_add_f64 v[122:123], v[136:137], v[6:7]
	v_add_f64 v[116:117], v[126:127], v[116:117]
	v_fma_f64 v[126:127], v[82:83], s[24:25], -v[132:133]
	v_add_f64 v[118:119], v[120:121], v[118:119]
	v_mul_f64 v[120:121], v[84:85], s[26:27]
	v_add_f64 v[52:53], v[52:53], -v[124:125]
	v_add_f64 v[54:55], v[54:55], v[4:5]
	v_mul_f64 v[124:125], v[86:87], s[20:21]
	v_add_f64 v[108:109], v[128:129], v[108:109]
	v_add_f64 v[56:57], v[122:123], v[56:57]
	v_fma_f64 v[122:123], v[90:91], s[8:9], v[140:141]
	s_mov_b32 s36, s22
	v_add_f64 v[106:107], v[106:107], -v[120:121]
	v_mul_f64 v[120:121], v[92:93], s[22:23]
	v_add_f64 v[52:53], v[52:53], v[54:55]
	v_add_f64 v[114:115], v[124:125], v[114:115]
	v_mul_f64 v[124:125], v[90:91], s[24:25]
	v_add_f64 v[56:57], v[108:109], v[56:57]
	v_mul_f64 v[108:109], v[96:97], s[2:3]
	;; [unrolled: 2-line block ×3, first 2 shown]
	v_add_f64 v[54:55], v[122:123], v[118:119]
	v_fma_f64 v[118:119], v[88:89], s[8:9], -v[134:135]
	v_add_f64 v[58:59], v[58:59], -v[120:121]
	v_add_f64 v[52:53], v[106:107], v[52:53]
	v_mul_f64 v[106:107], v[98:99], s[36:37]
	v_fma_f64 v[120:121], v[72:73], s[8:9], -v[108:109]
	v_add_f64 v[112:113], v[124:125], v[112:113]
	v_add_f64 v[56:57], v[114:115], v[56:57]
	v_mul_f64 v[114:115], v[78:79], s[2:3]
	v_add_f64 v[110:111], v[110:111], -v[126:127]
	v_mul_f64 v[124:125], v[100:101], s[28:29]
	v_add_f64 v[122:123], v[58:59], v[52:53]
	v_fma_f64 v[126:127], v[74:75], s[20:21], -v[106:107]
	v_add_f64 v[120:121], v[120:121], v[6:7]
	v_add_f64 v[52:53], v[118:119], v[116:117]
	;; [unrolled: 1-line block ×3, first 2 shown]
	v_mul_f64 v[112:113], v[70:71], s[36:37]
	v_fma_f64 v[116:117], v[66:67], s[8:9], v[114:115]
	v_fma_f64 v[108:109], v[72:73], s[8:9], v[108:109]
	v_add_f64 v[56:57], v[110:111], v[122:123]
	v_fma_f64 v[110:111], v[80:81], s[24:25], -v[124:125]
	v_add_f64 v[118:119], v[120:121], v[126:127]
	v_mul_f64 v[120:121], v[84:85], s[28:29]
	v_fma_f64 v[114:115], v[66:67], s[8:9], -v[114:115]
	v_fma_f64 v[122:123], v[68:69], s[20:21], v[112:113]
	v_add_f64 v[116:117], v[116:117], v[4:5]
	v_fma_f64 v[106:107], v[74:75], s[20:21], v[106:107]
	v_add_f64 v[108:109], v[108:109], v[6:7]
	v_fma_f64 v[112:113], v[68:69], s[20:21], -v[112:113]
	v_add_f64 v[110:111], v[110:111], v[118:119]
	v_fma_f64 v[118:119], v[76:77], s[24:25], v[120:121]
	v_add_f64 v[114:115], v[114:115], v[4:5]
	s_mov_b32 s29, 0xbfed1bb4
	v_add_f64 v[116:117], v[122:123], v[116:117]
	v_fma_f64 v[122:123], v[80:81], s[24:25], v[124:125]
	v_add_f64 v[106:107], v[108:109], v[106:107]
	v_mul_f64 v[108:109], v[92:93], s[26:27]
	v_mul_f64 v[126:127], v[102:103], s[26:27]
	v_fma_f64 v[120:121], v[76:77], s[24:25], -v[120:121]
	v_add_f64 v[112:113], v[112:113], v[114:115]
	v_mul_f64 v[128:129], v[96:97], s[28:29]
	v_add_f64 v[116:117], v[118:119], v[116:117]
	v_mul_f64 v[124:125], v[104:105], s[16:17]
	v_add_f64 v[106:107], v[122:123], v[106:107]
	v_fma_f64 v[122:123], v[82:83], s[18:19], v[108:109]
	v_fma_f64 v[114:115], v[86:87], s[18:19], -v[126:127]
	v_mul_f64 v[118:119], v[94:95], s[16:17]
	v_fma_f64 v[126:127], v[86:87], s[18:19], v[126:127]
	v_add_f64 v[112:113], v[120:121], v[112:113]
	v_mul_f64 v[120:121], v[98:99], s[16:17]
	v_fma_f64 v[108:109], v[82:83], s[18:19], -v[108:109]
	v_add_f64 v[42:43], v[42:43], v[6:7]
	v_add_f64 v[116:117], v[122:123], v[116:117]
	v_fma_f64 v[122:123], v[72:73], s[24:25], -v[128:129]
	v_add_f64 v[40:41], v[40:41], v[4:5]
	v_add_f64 v[110:111], v[114:115], v[110:111]
	v_fma_f64 v[114:115], v[90:91], s[6:7], -v[124:125]
	v_fma_f64 v[130:131], v[88:89], s[6:7], v[118:119]
	v_add_f64 v[126:127], v[126:127], v[106:107]
	v_fma_f64 v[124:125], v[90:91], s[6:7], v[124:125]
	v_mul_f64 v[134:135], v[100:101], s[36:37]
	v_fma_f64 v[136:137], v[74:75], s[6:7], -v[120:121]
	v_add_f64 v[122:123], v[122:123], v[6:7]
	v_add_f64 v[132:133], v[108:109], v[112:113]
	v_fma_f64 v[118:119], v[88:89], s[6:7], -v[118:119]
	v_add_f64 v[42:43], v[46:47], v[42:43]
	v_add_f64 v[40:41], v[44:45], v[40:41]
	;; [unrolled: 1-line block ×4, first 2 shown]
	v_fma_f64 v[116:117], v[80:81], s[20:21], -v[134:135]
	v_add_f64 v[122:123], v[122:123], v[136:137]
	v_mul_f64 v[124:125], v[78:79], s[28:29]
	v_add_f64 v[108:109], v[114:115], v[110:111]
	v_mul_f64 v[114:115], v[102:103], s[30:31]
	v_add_f64 v[110:111], v[118:119], v[132:133]
	v_fma_f64 v[118:119], v[72:73], s[24:25], v[128:129]
	v_add_f64 v[34:35], v[34:35], v[42:43]
	v_add_f64 v[42:43], v[32:33], v[40:41]
	v_mul_f64 v[46:47], v[70:71], s[16:17]
	v_add_f64 v[116:117], v[116:117], v[122:123]
	v_fma_f64 v[122:123], v[66:67], s[24:25], v[124:125]
	v_fma_f64 v[124:125], v[66:67], s[24:25], -v[124:125]
	v_fma_f64 v[44:45], v[86:87], s[8:9], -v[114:115]
	v_fma_f64 v[120:121], v[74:75], s[6:7], v[120:121]
	v_add_f64 v[118:119], v[118:119], v[6:7]
	v_add_f64 v[34:35], v[38:39], v[34:35]
	;; [unrolled: 1-line block ×3, first 2 shown]
	v_fma_f64 v[40:41], v[68:69], s[6:7], v[46:47]
	v_fma_f64 v[46:47], v[68:69], s[6:7], -v[46:47]
	v_add_f64 v[124:125], v[124:125], v[4:5]
	v_mul_f64 v[96:97], v[96:97], s[26:27]
	v_mul_f64 v[38:39], v[78:79], s[26:27]
	v_add_f64 v[122:123], v[122:123], v[4:5]
	v_add_f64 v[44:45], v[44:45], v[116:117]
	v_mul_f64 v[116:117], v[84:85], s[36:37]
	v_fma_f64 v[126:127], v[80:81], s[20:21], v[134:135]
	v_add_f64 v[118:119], v[118:119], v[120:121]
	v_add_f64 v[30:31], v[30:31], v[34:35]
	;; [unrolled: 1-line block ×3, first 2 shown]
	v_mul_f64 v[32:33], v[104:105], s[34:35]
	v_add_f64 v[46:47], v[46:47], v[124:125]
	v_mul_f64 v[98:99], v[98:99], s[28:29]
	v_fma_f64 v[124:125], v[72:73], s[18:19], -v[96:97]
	v_fma_f64 v[72:73], v[72:73], s[18:19], v[96:97]
	v_mul_f64 v[70:71], v[70:71], s[28:29]
	v_fma_f64 v[34:35], v[66:67], s[18:19], -v[38:39]
	v_add_f64 v[40:41], v[40:41], v[122:123]
	v_fma_f64 v[122:123], v[76:77], s[20:21], v[116:117]
	v_fma_f64 v[114:115], v[86:87], s[8:9], v[114:115]
	v_add_f64 v[118:119], v[126:127], v[118:119]
	v_mul_f64 v[126:127], v[92:93], s[30:31]
	v_fma_f64 v[116:117], v[76:77], s[20:21], -v[116:117]
	v_fma_f64 v[38:39], v[66:67], s[18:19], v[38:39]
	v_add_f64 v[22:23], v[22:23], v[30:31]
	v_add_f64 v[20:21], v[20:21], v[28:29]
	v_fma_f64 v[120:121], v[90:91], s[18:19], -v[32:33]
	v_add_f64 v[124:125], v[124:125], v[6:7]
	v_mul_f64 v[100:101], v[100:101], s[2:3]
	v_mul_f64 v[36:37], v[84:85], s[2:3]
	v_fma_f64 v[66:67], v[74:75], s[24:25], v[98:99]
	v_add_f64 v[6:7], v[72:73], v[6:7]
	v_fma_f64 v[72:73], v[68:69], s[24:25], -v[70:71]
	v_add_f64 v[28:29], v[34:35], v[4:5]
	v_add_f64 v[40:41], v[122:123], v[40:41]
	;; [unrolled: 1-line block ×3, first 2 shown]
	v_fma_f64 v[118:119], v[82:83], s[8:9], v[126:127]
	v_fma_f64 v[128:129], v[90:91], s[18:19], v[32:33]
	v_add_f64 v[46:47], v[116:117], v[46:47]
	v_fma_f64 v[116:117], v[74:75], s[24:25], -v[98:99]
	v_fma_f64 v[30:31], v[68:69], s[24:25], v[70:71]
	v_add_f64 v[4:5], v[38:39], v[4:5]
	v_add_f64 v[22:23], v[26:27], v[22:23]
	v_add_f64 v[20:21], v[24:25], v[20:21]
	v_add_f64 v[32:33], v[120:121], v[44:45]
	v_fma_f64 v[44:45], v[82:83], s[8:9], -v[126:127]
	v_mul_f64 v[102:103], v[102:103], s[16:17]
	v_mul_f64 v[92:93], v[92:93], s[16:17]
	v_fma_f64 v[34:35], v[80:81], s[8:9], v[100:101]
	v_add_f64 v[6:7], v[6:7], v[66:67]
	v_fma_f64 v[38:39], v[76:77], s[8:9], -v[36:37]
	v_add_f64 v[24:25], v[72:73], v[28:29]
	v_add_f64 v[118:119], v[118:119], v[40:41]
	;; [unrolled: 1-line block ×4, first 2 shown]
	v_fma_f64 v[116:117], v[80:81], s[8:9], -v[100:101]
	v_fma_f64 v[26:27], v[76:77], s[8:9], v[36:37]
	v_add_f64 v[4:5], v[30:31], v[4:5]
	v_add_f64 v[18:19], v[18:19], v[22:23]
	;; [unrolled: 1-line block ×4, first 2 shown]
	v_mul_f64 v[46:47], v[104:105], s[22:23]
	v_mul_f64 v[78:79], v[94:95], s[22:23]
	v_fma_f64 v[28:29], v[86:87], s[6:7], v[102:103]
	v_add_f64 v[6:7], v[34:35], v[6:7]
	v_fma_f64 v[30:31], v[82:83], s[6:7], -v[92:93]
	v_add_f64 v[20:21], v[38:39], v[24:25]
	v_mul_f64 v[122:123], v[94:95], s[34:35]
	v_fma_f64 v[104:105], v[86:87], s[6:7], -v[102:103]
	v_add_f64 v[42:43], v[116:117], v[114:115]
	v_fma_f64 v[22:23], v[82:83], s[6:7], v[92:93]
	v_add_f64 v[4:5], v[26:27], v[4:5]
	v_add_f64 v[14:15], v[14:15], v[18:19]
	;; [unrolled: 1-line block ×3, first 2 shown]
	v_fma_f64 v[24:25], v[90:91], s[20:21], v[46:47]
	v_add_f64 v[6:7], v[28:29], v[6:7]
	v_fma_f64 v[26:27], v[88:89], s[20:21], -v[78:79]
	v_add_f64 v[16:17], v[30:31], v[20:21]
	v_fma_f64 v[120:121], v[88:89], s[18:19], v[122:123]
	v_fma_f64 v[122:123], v[88:89], s[18:19], -v[122:123]
	v_fma_f64 v[18:19], v[90:91], s[20:21], -v[46:47]
	v_add_f64 v[20:21], v[104:105], v[42:43]
	v_fma_f64 v[28:29], v[88:89], s[20:21], v[78:79]
	v_add_f64 v[22:23], v[22:23], v[4:5]
	v_add_f64 v[10:11], v[10:11], v[14:15]
	;; [unrolled: 1-line block ×6, first 2 shown]
	s_movk_i32 s2, 0xb0
	v_mad_u32_u24 v16, v62, s2, 0
	v_add_f64 v[30:31], v[120:121], v[118:119]
	v_add_f64 v[14:15], v[18:19], v[20:21]
	;; [unrolled: 1-line block ×3, first 2 shown]
	ds_write_b128 v16, v[8:11]
	ds_write_b128 v16, v[4:7] offset:16
	ds_write_b128 v16, v[38:41] offset:32
	;; [unrolled: 1-line block ×10, first 2 shown]
.LBB0_13:
	s_or_b64 exec, exec, s[14:15]
	s_load_dwordx2 s[2:3], s[4:5], 0x0
	s_movk_i32 s4, 0x75
	v_mul_lo_u16_sdwa v4, v62, s4 dst_sel:DWORD dst_unused:UNUSED_PAD src0_sel:BYTE_0 src1_sel:DWORD
	v_sub_u16_sdwa v5, v62, v4 dst_sel:DWORD dst_unused:UNUSED_PAD src0_sel:DWORD src1_sel:BYTE_1
	v_lshrrev_b16_e32 v5, 1, v5
	v_and_b32_e32 v5, 0x7f, v5
	v_add_u16_sdwa v4, v5, v4 dst_sel:DWORD dst_unused:UNUSED_PAD src0_sel:DWORD src1_sel:BYTE_1
	v_lshrrev_b16_e32 v57, 3, v4
	v_mul_lo_u16_e32 v4, 11, v57
	v_sub_u16_e32 v58, v62, v4
	v_mov_b32_e32 v4, 6
	v_mul_u32_u24_sdwa v4, v58, v4 dst_sel:DWORD dst_unused:UNUSED_PAD src0_sel:BYTE_0 src1_sel:DWORD
	v_lshlrev_b32_e32 v28, 4, v4
	s_waitcnt lgkmcnt(0)
	s_barrier
	global_load_dwordx4 v[4:7], v28, s[12:13]
	global_load_dwordx4 v[8:11], v28, s[12:13] offset:16
	global_load_dwordx4 v[12:15], v28, s[12:13] offset:32
	;; [unrolled: 1-line block ×5, first 2 shown]
	v_lshl_add_u32 v32, v62, 4, 0
	ds_read_b128 v[28:31], v32
	ds_read_b128 v[33:36], v32 offset:1408
	ds_read_b128 v[37:40], v32 offset:2816
	;; [unrolled: 1-line block ×6, first 2 shown]
	v_mov_b32_e32 v59, 4
	v_mul_u32_u24_e32 v57, 0x4d0, v57
	v_lshlrev_b32_sdwa v58, v59, v58 dst_sel:DWORD dst_unused:UNUSED_PAD src0_sel:DWORD src1_sel:BYTE_0
	v_add3_u32 v59, 0, v57, v58
	s_mov_b32 s6, 0x37e14327
	s_mov_b32 s4, 0x36b3c0b5
	;; [unrolled: 1-line block ×16, first 2 shown]
	s_waitcnt vmcnt(0) lgkmcnt(0)
	s_barrier
	v_mul_f64 v[57:58], v[35:36], v[6:7]
	v_mul_f64 v[6:7], v[33:34], v[6:7]
	;; [unrolled: 1-line block ×12, first 2 shown]
	v_fma_f64 v[33:34], v[33:34], v[4:5], -v[57:58]
	v_fma_f64 v[4:5], v[35:36], v[4:5], v[6:7]
	v_fma_f64 v[6:7], v[37:38], v[8:9], -v[66:67]
	v_fma_f64 v[8:9], v[39:40], v[8:9], v[10:11]
	;; [unrolled: 2-line block ×6, first 2 shown]
	v_add_f64 v[18:19], v[33:34], v[10:11]
	v_add_f64 v[35:36], v[4:5], v[20:21]
	v_add_f64 v[10:11], v[33:34], -v[10:11]
	v_add_f64 v[4:5], v[4:5], -v[20:21]
	v_add_f64 v[20:21], v[6:7], v[14:15]
	v_add_f64 v[33:34], v[8:9], v[24:25]
	v_add_f64 v[6:7], v[6:7], -v[14:15]
	v_add_f64 v[8:9], v[8:9], -v[24:25]
	;; [unrolled: 4-line block ×4, first 2 shown]
	v_add_f64 v[20:21], v[14:15], -v[20:21]
	v_add_f64 v[35:36], v[35:36], -v[24:25]
	;; [unrolled: 1-line block ×3, first 2 shown]
	v_add_f64 v[41:42], v[22:23], v[6:7]
	v_add_f64 v[43:44], v[12:13], v[8:9]
	v_add_f64 v[45:46], v[22:23], -v[6:7]
	v_add_f64 v[47:48], v[12:13], -v[8:9]
	;; [unrolled: 1-line block ×5, first 2 shown]
	v_add_f64 v[14:15], v[14:15], v[16:17]
	v_add_f64 v[16:17], v[24:25], v[26:27]
	v_add_f64 v[22:23], v[10:11], -v[22:23]
	v_add_f64 v[12:13], v[4:5], -v[12:13]
	v_add_f64 v[10:11], v[41:42], v[10:11]
	v_add_f64 v[24:25], v[43:44], v[4:5]
	v_mul_f64 v[26:27], v[35:36], s[6:7]
	v_mul_f64 v[35:36], v[20:21], s[4:5]
	;; [unrolled: 1-line block ×8, first 2 shown]
	v_add_f64 v[4:5], v[28:29], v[14:15]
	v_add_f64 v[6:7], v[30:31], v[16:17]
	v_fma_f64 v[28:29], v[33:34], s[4:5], v[26:27]
	v_fma_f64 v[30:31], v[37:38], s[18:19], -v[35:36]
	v_fma_f64 v[33:34], v[39:40], s[18:19], -v[41:42]
	s_mov_b32 s19, 0xbfe77f67
	v_fma_f64 v[35:36], v[22:23], s[20:21], v[43:44]
	v_fma_f64 v[41:42], v[12:13], s[20:21], v[45:46]
	s_mov_b32 s21, 0xbfd5d0dc
	v_fma_f64 v[20:21], v[20:21], s[4:5], v[18:19]
	v_fma_f64 v[43:44], v[49:50], s[8:9], -v[43:44]
	v_fma_f64 v[8:9], v[8:9], s[8:9], -v[45:46]
	;; [unrolled: 1-line block ×6, first 2 shown]
	v_fma_f64 v[14:15], v[14:15], s[14:15], v[4:5]
	v_fma_f64 v[16:17], v[16:17], s[14:15], v[6:7]
	;; [unrolled: 1-line block ×8, first 2 shown]
	v_add_f64 v[45:46], v[20:21], v[14:15]
	v_add_f64 v[47:48], v[28:29], v[16:17]
	;; [unrolled: 1-line block ×6, first 2 shown]
	s_movk_i32 s4, 0x4d
	v_cmp_gt_u32_e32 vcc, s4, v62
	v_add_f64 v[8:9], v[37:38], v[45:46]
	v_add_f64 v[10:11], v[47:48], -v[35:36]
	v_add_f64 v[12:13], v[24:25], v[28:29]
	v_add_f64 v[14:15], v[26:27], -v[43:44]
	v_add_f64 v[16:17], v[20:21], -v[41:42]
	v_add_f64 v[18:19], v[39:40], v[22:23]
	v_add_f64 v[20:21], v[41:42], v[20:21]
	v_add_f64 v[22:23], v[22:23], -v[39:40]
	v_add_f64 v[24:25], v[28:29], -v[24:25]
	v_add_f64 v[26:27], v[43:44], v[26:27]
	v_add_f64 v[28:29], v[45:46], -v[37:38]
	v_add_f64 v[30:31], v[35:36], v[47:48]
	ds_write_b128 v59, v[4:7]
	ds_write_b128 v59, v[8:11] offset:176
	ds_write_b128 v59, v[12:15] offset:352
	ds_write_b128 v59, v[16:19] offset:528
	ds_write_b128 v59, v[20:23] offset:704
	ds_write_b128 v59, v[24:27] offset:880
	ds_write_b128 v59, v[28:31] offset:1056
	s_waitcnt lgkmcnt(0)
	s_barrier
	s_and_saveexec_b64 s[4:5], vcc
	s_cbranch_execnz .LBB0_16
; %bb.14:
	s_or_b64 exec, exec, s[4:5]
	s_and_b64 s[0:1], s[0:1], vcc
	s_and_saveexec_b64 s[4:5], s[0:1]
	s_cbranch_execnz .LBB0_17
.LBB0_15:
	s_endpgm
.LBB0_16:
	ds_read_b128 v[4:7], v32
	ds_read_b128 v[8:11], v32 offset:1232
	ds_read_b128 v[12:15], v32 offset:2464
	;; [unrolled: 1-line block ×7, first 2 shown]
	s_or_b64 exec, exec, s[4:5]
	s_and_b64 s[0:1], s[0:1], vcc
	s_and_saveexec_b64 s[4:5], s[0:1]
	s_cbranch_execz .LBB0_15
.LBB0_17:
	v_mul_u32_u24_e32 v32, 7, v62
	v_lshlrev_b32_e32 v63, 4, v32
	global_load_dwordx4 v[32:35], v63, s[12:13] offset:1072
	global_load_dwordx4 v[36:39], v63, s[12:13] offset:1136
	;; [unrolled: 1-line block ×7, first 2 shown]
	v_mul_lo_u32 v66, s3, v64
	v_mul_lo_u32 v67, s2, v65
	v_mad_u64_u32 v[64:65], s[0:1], s2, v64, 0
	v_mov_b32_e32 v68, s11
	v_lshlrev_b64 v[60:61], 4, v[60:61]
	v_add3_u32 v65, v65, v67, v66
	v_lshlrev_b64 v[64:65], 4, v[64:65]
	v_mov_b32_e32 v63, 0
	v_add_co_u32_e32 v64, vcc, s10, v64
	v_addc_co_u32_e32 v65, vcc, v68, v65, vcc
	v_lshlrev_b64 v[62:63], 4, v[62:63]
	v_add_co_u32_e32 v60, vcc, v64, v60
	v_addc_co_u32_e32 v61, vcc, v65, v61, vcc
	v_add_co_u32_e32 v60, vcc, v60, v62
	v_addc_co_u32_e32 v61, vcc, v61, v63, vcc
	s_mov_b32 s0, 0x667f3bcd
	s_mov_b32 s1, 0x3fe6a09e
	;; [unrolled: 1-line block ×4, first 2 shown]
	s_movk_i32 s4, 0x1000
	v_add_co_u32_e32 v62, vcc, s4, v60
	s_waitcnt vmcnt(6) lgkmcnt(5)
	v_mul_f64 v[63:64], v[14:15], v[34:35]
	s_waitcnt vmcnt(5) lgkmcnt(1)
	v_mul_f64 v[65:66], v[30:31], v[38:39]
	s_waitcnt vmcnt(4)
	v_mul_f64 v[67:68], v[22:23], v[40:41]
	s_waitcnt vmcnt(3)
	v_mul_f64 v[69:70], v[10:11], v[46:47]
	s_waitcnt vmcnt(2)
	v_mul_f64 v[71:72], v[26:27], v[50:51]
	s_waitcnt vmcnt(1)
	v_mul_f64 v[73:74], v[18:19], v[52:53]
	s_waitcnt vmcnt(0) lgkmcnt(0)
	v_mul_f64 v[75:76], v[2:3], v[56:57]
	v_mul_f64 v[46:47], v[8:9], v[46:47]
	;; [unrolled: 1-line block ×8, first 2 shown]
	v_fma_f64 v[12:13], v[12:13], v[32:33], -v[63:64]
	v_fma_f64 v[28:29], v[28:29], v[36:37], -v[65:66]
	v_fma_f64 v[42:43], v[20:21], v[42:43], v[67:68]
	v_fma_f64 v[8:9], v[8:9], v[44:45], -v[69:70]
	v_fma_f64 v[24:25], v[24:25], v[48:49], -v[71:72]
	v_fma_f64 v[54:55], v[16:17], v[54:55], v[73:74]
	v_fma_f64 v[58:59], v[0:1], v[58:59], v[75:76]
	;; [unrolled: 1-line block ×4, first 2 shown]
	v_fma_f64 v[16:17], v[16:17], v[52:53], -v[18:19]
	v_fma_f64 v[0:1], v[0:1], v[56:57], -v[2:3]
	;; [unrolled: 1-line block ×3, first 2 shown]
	v_fma_f64 v[14:15], v[14:15], v[32:33], v[34:35]
	v_fma_f64 v[18:19], v[30:31], v[36:37], v[38:39]
	v_add_f64 v[20:21], v[12:13], -v[28:29]
	v_add_f64 v[22:23], v[6:7], -v[42:43]
	;; [unrolled: 1-line block ×8, first 2 shown]
	v_fma_f64 v[12:13], v[12:13], 2.0, -v[20:21]
	v_add_f64 v[30:31], v[20:21], v[22:23]
	v_fma_f64 v[6:7], v[6:7], 2.0, -v[22:23]
	v_fma_f64 v[8:9], v[8:9], 2.0, -v[24:25]
	;; [unrolled: 1-line block ×3, first 2 shown]
	v_add_f64 v[35:36], v[26:27], v[0:1]
	v_fma_f64 v[4:5], v[4:5], 2.0, -v[2:3]
	v_add_f64 v[37:38], v[2:3], -v[18:19]
	v_fma_f64 v[14:15], v[14:15], 2.0, -v[18:19]
	v_fma_f64 v[18:19], v[54:55], 2.0, -v[28:29]
	;; [unrolled: 1-line block ×3, first 2 shown]
	v_add_f64 v[33:34], v[24:25], -v[28:29]
	v_fma_f64 v[28:29], v[22:23], 2.0, -v[30:31]
	v_fma_f64 v[20:21], v[26:27], 2.0, -v[35:36]
	v_add_f64 v[26:27], v[4:5], -v[12:13]
	v_addc_co_u32_e32 v63, vcc, 0, v61, vcc
	v_add_f64 v[22:23], v[6:7], -v[14:15]
	v_add_f64 v[14:15], v[10:11], -v[18:19]
	;; [unrolled: 1-line block ×3, first 2 shown]
	v_fma_f64 v[16:17], v[24:25], 2.0, -v[33:34]
	v_fma_f64 v[24:25], v[2:3], 2.0, -v[37:38]
	v_fma_f64 v[0:1], v[35:36], s[0:1], v[30:31]
	v_fma_f64 v[18:19], v[33:34], s[0:1], v[37:38]
	;; [unrolled: 1-line block ×3, first 2 shown]
	v_fma_f64 v[43:44], v[6:7], 2.0, -v[22:23]
	v_fma_f64 v[45:46], v[10:11], 2.0, -v[14:15]
	;; [unrolled: 1-line block ×4, first 2 shown]
	v_fma_f64 v[41:42], v[16:17], s[2:3], v[24:25]
	v_add_f64 v[6:7], v[22:23], v[12:13]
	v_add_f64 v[4:5], v[26:27], -v[14:15]
	v_fma_f64 v[2:3], v[33:34], s[0:1], v[0:1]
	v_fma_f64 v[0:1], v[35:36], s[2:3], v[18:19]
	;; [unrolled: 1-line block ×3, first 2 shown]
	v_add_f64 v[14:15], v[43:44], -v[45:46]
	v_add_f64 v[12:13], v[47:48], -v[49:50]
	v_fma_f64 v[8:9], v[20:21], s[2:3], v[41:42]
	v_fma_f64 v[22:23], v[22:23], 2.0, -v[6:7]
	v_fma_f64 v[20:21], v[26:27], 2.0, -v[4:5]
	;; [unrolled: 1-line block ×8, first 2 shown]
	v_add_co_u32_e32 v32, vcc, 0x2000, v60
	v_addc_co_u32_e32 v33, vcc, 0, v61, vcc
	global_store_dwordx4 v[62:63], v[4:7], off offset:3296
	global_store_dwordx4 v[60:61], v[20:23], off offset:2464
	;; [unrolled: 1-line block ×5, first 2 shown]
	global_store_dwordx4 v[60:61], v[28:31], off
	global_store_dwordx4 v[60:61], v[24:27], off offset:1232
	global_store_dwordx4 v[32:33], v[0:3], off offset:432
	s_endpgm
	.section	.rodata,"a",@progbits
	.p2align	6, 0x0
	.amdhsa_kernel fft_rtc_fwd_len616_factors_11_7_8_wgs_88_tpt_88_dp_op_CI_CI_unitstride_sbrr_dirReg
		.amdhsa_group_segment_fixed_size 0
		.amdhsa_private_segment_fixed_size 0
		.amdhsa_kernarg_size 104
		.amdhsa_user_sgpr_count 6
		.amdhsa_user_sgpr_private_segment_buffer 1
		.amdhsa_user_sgpr_dispatch_ptr 0
		.amdhsa_user_sgpr_queue_ptr 0
		.amdhsa_user_sgpr_kernarg_segment_ptr 1
		.amdhsa_user_sgpr_dispatch_id 0
		.amdhsa_user_sgpr_flat_scratch_init 0
		.amdhsa_user_sgpr_private_segment_size 0
		.amdhsa_uses_dynamic_stack 0
		.amdhsa_system_sgpr_private_segment_wavefront_offset 0
		.amdhsa_system_sgpr_workgroup_id_x 1
		.amdhsa_system_sgpr_workgroup_id_y 0
		.amdhsa_system_sgpr_workgroup_id_z 0
		.amdhsa_system_sgpr_workgroup_info 0
		.amdhsa_system_vgpr_workitem_id 0
		.amdhsa_next_free_vgpr 148
		.amdhsa_next_free_sgpr 38
		.amdhsa_reserve_vcc 1
		.amdhsa_reserve_flat_scratch 0
		.amdhsa_float_round_mode_32 0
		.amdhsa_float_round_mode_16_64 0
		.amdhsa_float_denorm_mode_32 3
		.amdhsa_float_denorm_mode_16_64 3
		.amdhsa_dx10_clamp 1
		.amdhsa_ieee_mode 1
		.amdhsa_fp16_overflow 0
		.amdhsa_exception_fp_ieee_invalid_op 0
		.amdhsa_exception_fp_denorm_src 0
		.amdhsa_exception_fp_ieee_div_zero 0
		.amdhsa_exception_fp_ieee_overflow 0
		.amdhsa_exception_fp_ieee_underflow 0
		.amdhsa_exception_fp_ieee_inexact 0
		.amdhsa_exception_int_div_zero 0
	.end_amdhsa_kernel
	.text
.Lfunc_end0:
	.size	fft_rtc_fwd_len616_factors_11_7_8_wgs_88_tpt_88_dp_op_CI_CI_unitstride_sbrr_dirReg, .Lfunc_end0-fft_rtc_fwd_len616_factors_11_7_8_wgs_88_tpt_88_dp_op_CI_CI_unitstride_sbrr_dirReg
                                        ; -- End function
	.section	.AMDGPU.csdata,"",@progbits
; Kernel info:
; codeLenInByte = 6464
; NumSgprs: 42
; NumVgprs: 148
; ScratchSize: 0
; MemoryBound: 1
; FloatMode: 240
; IeeeMode: 1
; LDSByteSize: 0 bytes/workgroup (compile time only)
; SGPRBlocks: 5
; VGPRBlocks: 36
; NumSGPRsForWavesPerEU: 42
; NumVGPRsForWavesPerEU: 148
; Occupancy: 1
; WaveLimiterHint : 1
; COMPUTE_PGM_RSRC2:SCRATCH_EN: 0
; COMPUTE_PGM_RSRC2:USER_SGPR: 6
; COMPUTE_PGM_RSRC2:TRAP_HANDLER: 0
; COMPUTE_PGM_RSRC2:TGID_X_EN: 1
; COMPUTE_PGM_RSRC2:TGID_Y_EN: 0
; COMPUTE_PGM_RSRC2:TGID_Z_EN: 0
; COMPUTE_PGM_RSRC2:TIDIG_COMP_CNT: 0
	.type	__hip_cuid_d47a6c3560a4f2ee,@object ; @__hip_cuid_d47a6c3560a4f2ee
	.section	.bss,"aw",@nobits
	.globl	__hip_cuid_d47a6c3560a4f2ee
__hip_cuid_d47a6c3560a4f2ee:
	.byte	0                               ; 0x0
	.size	__hip_cuid_d47a6c3560a4f2ee, 1

	.ident	"AMD clang version 19.0.0git (https://github.com/RadeonOpenCompute/llvm-project roc-6.4.0 25133 c7fe45cf4b819c5991fe208aaa96edf142730f1d)"
	.section	".note.GNU-stack","",@progbits
	.addrsig
	.addrsig_sym __hip_cuid_d47a6c3560a4f2ee
	.amdgpu_metadata
---
amdhsa.kernels:
  - .args:
      - .actual_access:  read_only
        .address_space:  global
        .offset:         0
        .size:           8
        .value_kind:     global_buffer
      - .offset:         8
        .size:           8
        .value_kind:     by_value
      - .actual_access:  read_only
        .address_space:  global
        .offset:         16
        .size:           8
        .value_kind:     global_buffer
      - .actual_access:  read_only
        .address_space:  global
        .offset:         24
        .size:           8
        .value_kind:     global_buffer
      - .actual_access:  read_only
        .address_space:  global
        .offset:         32
        .size:           8
        .value_kind:     global_buffer
      - .offset:         40
        .size:           8
        .value_kind:     by_value
      - .actual_access:  read_only
        .address_space:  global
        .offset:         48
        .size:           8
        .value_kind:     global_buffer
      - .actual_access:  read_only
        .address_space:  global
        .offset:         56
        .size:           8
        .value_kind:     global_buffer
      - .offset:         64
        .size:           4
        .value_kind:     by_value
      - .actual_access:  read_only
        .address_space:  global
        .offset:         72
        .size:           8
        .value_kind:     global_buffer
      - .actual_access:  read_only
        .address_space:  global
        .offset:         80
        .size:           8
        .value_kind:     global_buffer
      - .actual_access:  read_only
        .address_space:  global
        .offset:         88
        .size:           8
        .value_kind:     global_buffer
      - .actual_access:  write_only
        .address_space:  global
        .offset:         96
        .size:           8
        .value_kind:     global_buffer
    .group_segment_fixed_size: 0
    .kernarg_segment_align: 8
    .kernarg_segment_size: 104
    .language:       OpenCL C
    .language_version:
      - 2
      - 0
    .max_flat_workgroup_size: 88
    .name:           fft_rtc_fwd_len616_factors_11_7_8_wgs_88_tpt_88_dp_op_CI_CI_unitstride_sbrr_dirReg
    .private_segment_fixed_size: 0
    .sgpr_count:     42
    .sgpr_spill_count: 0
    .symbol:         fft_rtc_fwd_len616_factors_11_7_8_wgs_88_tpt_88_dp_op_CI_CI_unitstride_sbrr_dirReg.kd
    .uniform_work_group_size: 1
    .uses_dynamic_stack: false
    .vgpr_count:     148
    .vgpr_spill_count: 0
    .wavefront_size: 64
amdhsa.target:   amdgcn-amd-amdhsa--gfx906
amdhsa.version:
  - 1
  - 2
...

	.end_amdgpu_metadata
